;; amdgpu-corpus repo=ROCm/rocFFT kind=compiled arch=gfx1030 opt=O3
	.text
	.amdgcn_target "amdgcn-amd-amdhsa--gfx1030"
	.amdhsa_code_object_version 6
	.protected	fft_rtc_fwd_len160_factors_4_10_4_wgs_192_tpt_16_sp_ip_CI_sbcc_twdbase5_3step_dirReg_intrinsicReadWrite ; -- Begin function fft_rtc_fwd_len160_factors_4_10_4_wgs_192_tpt_16_sp_ip_CI_sbcc_twdbase5_3step_dirReg_intrinsicReadWrite
	.globl	fft_rtc_fwd_len160_factors_4_10_4_wgs_192_tpt_16_sp_ip_CI_sbcc_twdbase5_3step_dirReg_intrinsicReadWrite
	.p2align	8
	.type	fft_rtc_fwd_len160_factors_4_10_4_wgs_192_tpt_16_sp_ip_CI_sbcc_twdbase5_3step_dirReg_intrinsicReadWrite,@function
fft_rtc_fwd_len160_factors_4_10_4_wgs_192_tpt_16_sp_ip_CI_sbcc_twdbase5_3step_dirReg_intrinsicReadWrite: ; @fft_rtc_fwd_len160_factors_4_10_4_wgs_192_tpt_16_sp_ip_CI_sbcc_twdbase5_3step_dirReg_intrinsicReadWrite
; %bb.0:
	s_load_dwordx8 s[8:15], s[4:5], 0x8
	v_cmp_gt_u32_e64 s1, 0x60, v0
	s_and_saveexec_b32 s0, s1
	s_cbranch_execz .LBB0_2
; %bb.1:
	v_lshlrev_b32_e32 v3, 3, v0
	s_waitcnt lgkmcnt(0)
	global_load_dwordx2 v[1:2], v3, s[8:9]
	v_add_nc_u32_e32 v3, 0, v3
	s_waitcnt vmcnt(0)
	ds_write_b64 v3, v[1:2] offset:15360
.LBB0_2:
	s_or_b32 exec_lo, exec_lo, s0
	s_waitcnt lgkmcnt(0)
	s_load_dwordx2 s[2:3], s[12:13], 0x8
	s_waitcnt lgkmcnt(0)
	s_add_u32 s0, s2, -1
	s_addc_u32 s7, s3, -1
	s_add_u32 s8, 0, 0x55540000
	s_addc_u32 s9, 0, 0x55
	s_mul_hi_u32 s17, s8, -12
	s_add_i32 s9, s9, 0x15555500
	s_sub_i32 s17, s17, s8
	s_mul_i32 s19, s9, -12
	s_mul_i32 s16, s8, -12
	s_add_i32 s17, s17, s19
	s_mul_hi_u32 s18, s8, s16
	s_mul_i32 s21, s8, s17
	s_mul_hi_u32 s19, s8, s17
	s_mul_hi_u32 s20, s9, s16
	s_mul_i32 s16, s9, s16
	s_add_u32 s18, s18, s21
	s_addc_u32 s19, 0, s19
	s_mul_hi_u32 s22, s9, s17
	s_add_u32 s16, s18, s16
	s_mul_i32 s17, s9, s17
	s_addc_u32 s16, s19, s20
	s_addc_u32 s18, s22, 0
	s_add_u32 s16, s16, s17
	v_add_co_u32 v1, s8, s8, s16
	s_addc_u32 s16, 0, s18
	s_cmp_lg_u32 s8, 0
	s_addc_u32 s8, s9, s16
	v_readfirstlane_b32 s9, v1
	s_mul_i32 s17, s0, s8
	s_mul_hi_u32 s16, s0, s8
	s_mul_hi_u32 s18, s7, s8
	s_mul_i32 s8, s7, s8
	s_mul_hi_u32 s19, s0, s9
	s_mul_hi_u32 s20, s7, s9
	s_mul_i32 s9, s7, s9
	s_add_u32 s17, s19, s17
	s_addc_u32 s16, 0, s16
	s_add_u32 s9, s17, s9
	s_addc_u32 s9, s16, s20
	s_addc_u32 s16, s18, 0
	s_add_u32 s8, s9, s8
	s_addc_u32 s9, 0, s16
	s_mul_i32 s17, s8, 12
	s_add_u32 s16, s8, 1
	v_sub_co_u32 v1, s0, s0, s17
	s_mul_hi_u32 s17, s8, 12
	s_addc_u32 s18, s9, 0
	s_mul_i32 s19, s9, 12
	v_sub_co_u32 v2, s20, v1, 12
	s_add_u32 s21, s8, 2
	s_addc_u32 s22, s9, 0
	s_add_i32 s17, s17, s19
	s_cmp_lg_u32 s0, 0
	v_readfirstlane_b32 s0, v2
	s_subb_u32 s7, s7, s17
	s_cmp_lg_u32 s20, 0
	s_subb_u32 s17, s7, 0
	s_cmp_gt_u32 s0, 11
	s_cselect_b32 s0, -1, 0
	s_cmp_eq_u32 s17, 0
	v_readfirstlane_b32 s17, v1
	s_cselect_b32 s0, s0, -1
	s_cmp_lg_u32 s0, 0
	s_cselect_b32 s0, s21, s16
	s_cselect_b32 s16, s22, s18
	s_cmp_gt_u32 s17, 11
	s_mov_b64 s[22:23], 0
	s_cselect_b32 s17, -1, 0
	s_cmp_eq_u32 s7, 0
	s_cselect_b32 s7, s17, -1
	s_cmp_lg_u32 s7, 0
	s_mov_b32 s7, 0
	s_cselect_b32 s0, s0, s8
	s_cselect_b32 s8, s16, s9
	s_add_u32 s20, s0, 1
	s_addc_u32 s21, s8, 0
	v_cmp_lt_u64_e64 s0, s[6:7], s[20:21]
	s_and_b32 vcc_lo, exec_lo, s0
	s_cbranch_vccnz .LBB0_4
; %bb.3:
	v_cvt_f32_u32_e32 v1, s20
	s_sub_i32 s8, 0, s20
	s_mov_b32 s23, s7
	v_rcp_iflag_f32_e32 v1, v1
	v_mul_f32_e32 v1, 0x4f7ffffe, v1
	v_cvt_u32_f32_e32 v1, v1
	v_readfirstlane_b32 s0, v1
	s_mul_i32 s8, s8, s0
	s_mul_hi_u32 s8, s0, s8
	s_add_i32 s0, s0, s8
	s_mul_hi_u32 s0, s6, s0
	s_mul_i32 s8, s0, s20
	s_add_i32 s9, s0, 1
	s_sub_i32 s8, s6, s8
	s_sub_i32 s16, s8, s20
	s_cmp_ge_u32 s8, s20
	s_cselect_b32 s0, s9, s0
	s_cselect_b32 s8, s16, s8
	s_add_i32 s9, s0, 1
	s_cmp_ge_u32 s8, s20
	s_cselect_b32 s22, s9, s0
.LBB0_4:
	s_load_dwordx4 s[16:19], s[14:15], 0x0
	s_clause 0x1
	s_load_dwordx2 s[8:9], s[4:5], 0x58
	s_load_dwordx2 s[4:5], s[4:5], 0x0
	s_mul_i32 s0, s22, s21
	s_waitcnt lgkmcnt(0)
	s_mul_hi_u32 s17, s22, s20
	s_mul_i32 s24, s22, s20
	s_add_i32 s17, s17, s0
	s_sub_u32 s0, s6, s24
	v_cmp_lt_u64_e64 s25, s[10:11], 3
	s_subb_u32 s17, 0, s17
	s_mul_hi_u32 s24, s0, 12
	s_mul_i32 s26, s17, 12
	s_mul_i32 s17, s0, 12
	s_add_i32 s0, s24, s26
	s_and_b32 vcc_lo, exec_lo, s25
	s_mul_i32 s24, s18, s0
	s_mul_hi_u32 s25, s18, s17
	s_mul_i32 s26, s19, s17
	s_add_i32 s24, s25, s24
	s_mul_i32 s33, s18, s17
	s_add_i32 s36, s24, s26
	s_cbranch_vccnz .LBB0_12
; %bb.5:
	s_add_u32 s24, s14, 16
	s_addc_u32 s25, s15, 0
	s_add_u32 s12, s12, 16
	s_addc_u32 s13, s13, 0
	s_mov_b64 s[26:27], 2
	s_mov_b32 s28, 0
.LBB0_6:                                ; =>This Inner Loop Header: Depth=1
	s_load_dwordx2 s[30:31], s[12:13], 0x0
	s_waitcnt lgkmcnt(0)
	s_or_b64 s[34:35], s[22:23], s[30:31]
	s_mov_b32 s29, s35
                                        ; implicit-def: $sgpr34_sgpr35
	s_cmp_lg_u64 s[28:29], 0
	s_mov_b32 s29, -1
	s_cbranch_scc0 .LBB0_8
; %bb.7:                                ;   in Loop: Header=BB0_6 Depth=1
	v_cvt_f32_u32_e32 v1, s30
	v_cvt_f32_u32_e32 v2, s31
	s_sub_u32 s35, 0, s30
	s_subb_u32 s37, 0, s31
	v_fmac_f32_e32 v1, 0x4f800000, v2
	v_rcp_f32_e32 v1, v1
	v_mul_f32_e32 v1, 0x5f7ffffc, v1
	v_mul_f32_e32 v2, 0x2f800000, v1
	v_trunc_f32_e32 v2, v2
	v_fmac_f32_e32 v1, 0xcf800000, v2
	v_cvt_u32_f32_e32 v2, v2
	v_cvt_u32_f32_e32 v1, v1
	v_readfirstlane_b32 s29, v2
	v_readfirstlane_b32 s34, v1
	s_mul_i32 s38, s35, s29
	s_mul_hi_u32 s40, s35, s34
	s_mul_i32 s39, s37, s34
	s_add_i32 s38, s40, s38
	s_mul_i32 s41, s35, s34
	s_add_i32 s38, s38, s39
	s_mul_hi_u32 s40, s34, s41
	s_mul_hi_u32 s42, s29, s41
	s_mul_i32 s39, s29, s41
	s_mul_hi_u32 s41, s34, s38
	s_mul_i32 s34, s34, s38
	s_mul_hi_u32 s43, s29, s38
	s_add_u32 s34, s40, s34
	s_addc_u32 s40, 0, s41
	s_add_u32 s34, s34, s39
	s_mul_i32 s38, s29, s38
	s_addc_u32 s34, s40, s42
	s_addc_u32 s39, s43, 0
	s_add_u32 s34, s34, s38
	s_addc_u32 s38, 0, s39
	v_add_co_u32 v1, s34, v1, s34
	s_cmp_lg_u32 s34, 0
	s_addc_u32 s29, s29, s38
	v_readfirstlane_b32 s34, v1
	s_mul_i32 s38, s35, s29
	s_mul_hi_u32 s39, s35, s34
	s_mul_i32 s37, s37, s34
	s_add_i32 s38, s39, s38
	s_mul_i32 s35, s35, s34
	s_add_i32 s38, s38, s37
	s_mul_hi_u32 s39, s29, s35
	s_mul_i32 s40, s29, s35
	s_mul_hi_u32 s35, s34, s35
	s_mul_hi_u32 s41, s34, s38
	s_mul_i32 s34, s34, s38
	s_mul_hi_u32 s37, s29, s38
	s_add_u32 s34, s35, s34
	s_addc_u32 s35, 0, s41
	s_add_u32 s34, s34, s40
	s_mul_i32 s38, s29, s38
	s_addc_u32 s34, s35, s39
	s_addc_u32 s35, s37, 0
	s_add_u32 s34, s34, s38
	s_addc_u32 s35, 0, s35
	v_add_co_u32 v1, s34, v1, s34
	s_cmp_lg_u32 s34, 0
	s_addc_u32 s29, s29, s35
	v_readfirstlane_b32 s34, v1
	s_mul_i32 s37, s22, s29
	s_mul_hi_u32 s35, s22, s29
	s_mul_hi_u32 s38, s23, s29
	s_mul_i32 s29, s23, s29
	s_mul_hi_u32 s39, s22, s34
	s_mul_hi_u32 s40, s23, s34
	s_mul_i32 s34, s23, s34
	s_add_u32 s37, s39, s37
	s_addc_u32 s35, 0, s35
	s_add_u32 s34, s37, s34
	s_addc_u32 s34, s35, s40
	s_addc_u32 s35, s38, 0
	s_add_u32 s34, s34, s29
	s_addc_u32 s35, 0, s35
	s_mul_hi_u32 s29, s30, s34
	s_mul_i32 s38, s30, s35
	s_mul_i32 s39, s30, s34
	s_add_i32 s29, s29, s38
	v_sub_co_u32 v1, s38, s22, s39
	s_mul_i32 s37, s31, s34
	s_add_i32 s29, s29, s37
	v_sub_co_u32 v2, s39, v1, s30
	s_sub_i32 s37, s23, s29
	s_cmp_lg_u32 s38, 0
	s_subb_u32 s37, s37, s31
	s_cmp_lg_u32 s39, 0
	v_readfirstlane_b32 s39, v2
	s_subb_u32 s37, s37, 0
	s_cmp_ge_u32 s37, s31
	s_cselect_b32 s40, -1, 0
	s_cmp_ge_u32 s39, s30
	s_cselect_b32 s39, -1, 0
	s_cmp_eq_u32 s37, s31
	s_cselect_b32 s37, s39, s40
	s_add_u32 s39, s34, 1
	s_addc_u32 s40, s35, 0
	s_add_u32 s41, s34, 2
	s_addc_u32 s42, s35, 0
	s_cmp_lg_u32 s37, 0
	s_cselect_b32 s37, s41, s39
	s_cselect_b32 s39, s42, s40
	s_cmp_lg_u32 s38, 0
	v_readfirstlane_b32 s38, v1
	s_subb_u32 s29, s23, s29
	s_cmp_ge_u32 s29, s31
	s_cselect_b32 s40, -1, 0
	s_cmp_ge_u32 s38, s30
	s_cselect_b32 s38, -1, 0
	s_cmp_eq_u32 s29, s31
	s_cselect_b32 s29, s38, s40
	s_cmp_lg_u32 s29, 0
	s_mov_b32 s29, 0
	s_cselect_b32 s35, s39, s35
	s_cselect_b32 s34, s37, s34
.LBB0_8:                                ;   in Loop: Header=BB0_6 Depth=1
	s_andn2_b32 vcc_lo, exec_lo, s29
	s_cbranch_vccnz .LBB0_10
; %bb.9:                                ;   in Loop: Header=BB0_6 Depth=1
	v_cvt_f32_u32_e32 v1, s30
	s_sub_i32 s34, 0, s30
	v_rcp_iflag_f32_e32 v1, v1
	v_mul_f32_e32 v1, 0x4f7ffffe, v1
	v_cvt_u32_f32_e32 v1, v1
	v_readfirstlane_b32 s29, v1
	s_mul_i32 s34, s34, s29
	s_mul_hi_u32 s34, s29, s34
	s_add_i32 s29, s29, s34
	s_mul_hi_u32 s29, s22, s29
	s_mul_i32 s34, s29, s30
	s_add_i32 s35, s29, 1
	s_sub_i32 s34, s22, s34
	s_sub_i32 s37, s34, s30
	s_cmp_ge_u32 s34, s30
	s_cselect_b32 s29, s35, s29
	s_cselect_b32 s34, s37, s34
	s_add_i32 s35, s29, 1
	s_cmp_ge_u32 s34, s30
	s_cselect_b32 s34, s35, s29
	s_mov_b32 s35, s28
.LBB0_10:                               ;   in Loop: Header=BB0_6 Depth=1
	s_load_dwordx2 s[38:39], s[24:25], 0x0
	s_mul_i32 s21, s30, s21
	s_mul_hi_u32 s29, s30, s20
	s_mul_i32 s37, s31, s20
	s_mul_i32 s31, s34, s31
	s_mul_hi_u32 s40, s34, s30
	s_mul_i32 s41, s35, s30
	s_add_i32 s21, s29, s21
	s_add_i32 s29, s40, s31
	s_mul_i32 s42, s34, s30
	s_add_i32 s21, s21, s37
	s_add_i32 s29, s29, s41
	s_sub_u32 s22, s22, s42
	s_subb_u32 s23, s23, s29
	s_mul_i32 s20, s30, s20
	s_waitcnt lgkmcnt(0)
	s_mul_i32 s23, s38, s23
	s_mul_hi_u32 s29, s38, s22
	s_add_i32 s23, s29, s23
	s_mul_i32 s29, s39, s22
	s_mul_i32 s22, s38, s22
	s_add_i32 s23, s23, s29
	s_add_u32 s33, s22, s33
	s_addc_u32 s36, s23, s36
	s_add_u32 s26, s26, 1
	s_addc_u32 s27, s27, 0
	s_add_u32 s24, s24, 8
	v_cmp_ge_u64_e64 s22, s[26:27], s[10:11]
	s_addc_u32 s25, s25, 0
	s_add_u32 s12, s12, 8
	s_addc_u32 s13, s13, 0
	s_and_b32 vcc_lo, exec_lo, s22
	s_cbranch_vccnz .LBB0_13
; %bb.11:                               ;   in Loop: Header=BB0_6 Depth=1
	s_mov_b64 s[22:23], s[34:35]
	s_branch .LBB0_6
.LBB0_12:
	v_mov_b32_e32 v1, s22
	v_mov_b32_e32 v2, s23
	s_branch .LBB0_15
.LBB0_13:
	v_cmp_lt_u64_e64 s7, s[6:7], s[20:21]
	v_mov_b32_e32 v1, 0
	v_mov_b32_e32 v2, 0
	s_and_b32 vcc_lo, exec_lo, s7
	s_cbranch_vccnz .LBB0_15
; %bb.14:
	v_cvt_f32_u32_e32 v1, s20
	s_sub_i32 s7, 0, s20
	v_rcp_iflag_f32_e32 v1, v1
	v_mul_f32_e32 v1, 0x4f7ffffe, v1
	v_cvt_u32_f32_e32 v1, v1
	v_mul_lo_u32 v2, s7, v1
	v_mul_hi_u32 v2, v1, v2
	v_add_nc_u32_e32 v1, v1, v2
	v_mul_hi_u32 v1, s6, v1
	v_mul_lo_u32 v2, v1, s20
	v_add_nc_u32_e32 v3, 1, v1
	v_sub_nc_u32_e32 v2, s6, v2
	v_subrev_nc_u32_e32 v4, s20, v2
	v_cmp_le_u32_e32 vcc_lo, s20, v2
	v_cndmask_b32_e32 v2, v2, v4, vcc_lo
	v_cndmask_b32_e32 v1, v1, v3, vcc_lo
	v_cmp_le_u32_e32 vcc_lo, s20, v2
	v_add_nc_u32_e32 v3, 1, v1
	v_cndmask_b32_e32 v1, v1, v3, vcc_lo
.LBB0_15:
	s_lshl_b64 s[6:7], s[10:11], 3
	v_mul_hi_u32 v34, 0x15555556, v0
	s_add_u32 s6, s14, s6
	s_addc_u32 s7, s15, s7
	s_mov_b32 s11, 0x31014000
	s_load_dword s12, s[6:7], 0x0
	s_add_u32 s6, s17, 12
	s_addc_u32 s7, s0, 0
	s_mov_b32 s10, -2
	v_mul_u32_u24_e32 v2, 12, v34
	v_add_nc_u32_e32 v3, 40, v34
	v_add_nc_u32_e32 v4, 0x50, v34
	v_cmp_le_u64_e64 s6, s[6:7], s[2:3]
	v_add_nc_u32_e32 v5, 0x78, v34
	v_sub_nc_u32_e32 v2, v0, v2
	v_mul_lo_u32 v29, s16, v34
	v_add_nc_u32_e32 v27, 16, v34
	v_add_nc_u32_e32 v6, 56, v34
	v_mul_lo_u32 v31, s16, v3
	v_add_co_u32 v14, s7, s17, v2
	v_mad_u64_u32 v[12:13], null, s18, v2, 0
	v_add_co_ci_u32_e64 v15, null, s0, 0, s7
	s_waitcnt lgkmcnt(0)
	v_mul_lo_u32 v1, s12, v1
	v_mul_lo_u32 v30, s16, v4
	;; [unrolled: 1-line block ×5, first 2 shown]
	v_cmp_gt_u64_e32 vcc_lo, s[2:3], v[14:15]
	v_add_lshl_u32 v5, v12, v29, 3
	v_add_lshl_u32 v6, v12, v31, 3
	v_add_nc_u32_e32 v1, s33, v1
	v_add_lshl_u32 v7, v12, v30, 3
	v_cmp_gt_u32_e64 s2, 0x60, v0
	s_or_b32 s0, s6, vcc_lo
	v_add_lshl_u32 v3, v12, v3, 3
	v_lshlrev_b32_e32 v33, 3, v1
	v_add_lshl_u32 v1, v12, v32, 3
	v_cndmask_b32_e64 v5, -1, v5, s0
	v_add_lshl_u32 v18, v12, v4, 3
	v_cndmask_b32_e64 v8, -1, v6, s0
	v_readfirstlane_b32 s3, v33
	v_or_b32_e32 v16, 0x60, v34
	v_cndmask_b32_e64 v10, -1, v7, s0
	v_cndmask_b32_e64 v15, 0, 1, vcc_lo
	v_cndmask_b32_e64 v1, -1, v1, s0
	v_cmp_lt_u32_e32 vcc_lo, 0x5f, v0
	s_clause 0x3
	buffer_load_dwordx2 v[6:7], v5, s[8:11], s3 offen
	buffer_load_dwordx2 v[8:9], v8, s[8:11], s3 offen
	;; [unrolled: 1-line block ×4, first 2 shown]
	v_cndmask_b32_e64 v1, -1, v3, s0
	v_cndmask_b32_e64 v3, -1, v18, s0
	v_cndmask_b32_e64 v0, 0, 1, s2
	v_add_nc_u32_e32 v18, 0x48, v34
	v_add_nc_u32_e32 v17, 0x88, v34
	v_mul_lo_u32 v16, s16, v16
	v_add_nc_u32_e32 v20, 0x70, v34
	v_or_b32_e32 v28, 32, v34
	s_or_b32 vcc_lo, vcc_lo, s6
	v_mul_lo_u32 v17, s16, v17
	v_cndmask_b32_e32 v0, v15, v0, vcc_lo
	v_mul_lo_u32 v15, s16, v18
	v_add_nc_u32_e32 v18, 0x98, v34
	v_mul_lo_u32 v20, s16, v20
	v_mul_lo_u32 v19, s16, v28
	v_add_lshl_u32 v16, v12, v16, 3
	v_and_b32_e32 v0, 1, v0
	v_mul_lo_u32 v18, s16, v18
	v_add_lshl_u32 v17, v12, v17, 3
	v_add_lshl_u32 v15, v12, v15, 3
	v_mad_u64_u32 v[39:40], null, s19, v2, v[13:14]
	v_cmp_eq_u32_e32 vcc_lo, 1, v0
	v_cndmask_b32_e64 v0, -1, v16, s0
	v_add_lshl_u32 v16, v12, v20, 3
	v_add_lshl_u32 v19, v12, v19, 3
	;; [unrolled: 1-line block ×3, first 2 shown]
	v_cndmask_b32_e64 v21, -1, v17, s0
	v_cndmask_b32_e32 v35, -1, v15, vcc_lo
	v_cndmask_b32_e32 v23, -1, v16, vcc_lo
	;; [unrolled: 1-line block ×3, first 2 shown]
	s_clause 0x2
	buffer_load_dwordx2 v[15:16], v1, s[8:11], s3 offen
	buffer_load_dwordx2 v[17:18], v3, s[8:11], s3 offen
	;; [unrolled: 1-line block ×3, first 2 shown]
	v_cndmask_b32_e32 v0, -1, v22, vcc_lo
	s_clause 0x4
	buffer_load_dwordx2 v[21:22], v21, s[8:11], s3 offen
	buffer_load_dwordx2 v[23:24], v23, s[8:11], s3 offen
	;; [unrolled: 1-line block ×5, first 2 shown]
	v_mul_u32_u24_e32 v0, 48, v34
	v_lshl_add_u32 v1, v0, 3, 0
	v_lshlrev_b32_e32 v0, 3, v2
	v_add_nc_u32_e32 v3, 0x1800, v1
	v_add_nc_u32_e32 v41, v1, v0
	;; [unrolled: 1-line block ×3, first 2 shown]
	s_waitcnt vmcnt(9)
	v_sub_f32_e32 v13, v6, v4
	v_sub_f32_e32 v39, v7, v5
	s_waitcnt vmcnt(8)
	v_sub_f32_e32 v10, v8, v10
	v_sub_f32_e32 v11, v9, v11
	;; [unrolled: 3-line block ×6, first 2 shown]
	v_fma_f32 v37, v6, 2.0, -v13
	v_fma_f32 v38, v7, 2.0, -v39
	;; [unrolled: 1-line block ×12, first 2 shown]
	v_sub_f32_e32 v8, v13, v11
	v_add_f32_e32 v9, v39, v10
	v_sub_f32_e32 v10, v40, v20
	v_add_f32_e32 v11, v43, v19
	v_sub_f32_e32 v19, v37, v23
	v_sub_f32_e32 v20, v38, v24
	;; [unrolled: 1-line block ×5, first 2 shown]
	v_add_f32_e32 v16, v5, v21
	v_sub_f32_e32 v17, v6, v46
	v_sub_f32_e32 v18, v7, v47
	v_fma_f32 v21, v13, 2.0, -v8
	v_fma_f32 v22, v39, 2.0, -v9
	;; [unrolled: 1-line block ×8, first 2 shown]
	ds_write2_b64 v41, v[19:20], v[8:9] offset0:24 offset1:36
	ds_write2_b64 v41, v[35:36], v[21:22] offset1:12
	ds_write2_b64 v42, v[37:38], v[25:26] offset1:12
	ds_write2_b64 v42, v[23:24], v[10:11] offset0:24 offset1:36
	s_and_saveexec_b32 s2, s1
	s_cbranch_execz .LBB0_17
; %bb.16:
	v_lshl_add_u32 v2, v2, 3, v3
	v_fma_f32 v5, v5, 2.0, -v16
	v_fma_f32 v4, v4, 2.0, -v15
	;; [unrolled: 1-line block ×4, first 2 shown]
	v_add_nc_u32_e32 v2, 0x1800, v2
	ds_write2_b64 v2, v[6:7], v[4:5] offset1:12
	ds_write2_b64 v2, v[17:18], v[15:16] offset0:24 offset1:36
.LBB0_17:
	s_or_b32 exec_lo, exec_lo, s2
	v_mul_i32_i24_e32 v2, 0xfffffee0, v34
	v_and_b32_e32 v56, 3, v34
	s_waitcnt lgkmcnt(0)
	s_barrier
	buffer_gl0_inv
	v_add3_u32 v13, v1, v2, v0
	v_mul_i32_i24_e32 v1, 0xfffffee0, v27
	ds_read2st64_b64 v[4:7], v13 offset1:9
	v_add3_u32 v35, v3, v1, v0
	v_mul_u32_u24_e32 v1, 9, v56
	ds_read2st64_b64 v[8:11], v35 offset1:3
	ds_read2st64_b64 v[19:22], v13 offset0:12 offset1:15
	ds_read2st64_b64 v[23:26], v13 offset0:18 offset1:21
	;; [unrolled: 1-line block ×3, first 2 shown]
	v_lshlrev_b32_e32 v1, 3, v1
	s_clause 0x3
	global_load_dwordx4 v[40:43], v1, s[4:5] offset:48
	global_load_dwordx4 v[44:47], v1, s[4:5] offset:32
	;; [unrolled: 1-line block ×3, first 2 shown]
	global_load_dwordx4 v[52:55], v1, s[4:5]
	s_waitcnt vmcnt(0) lgkmcnt(3)
	v_mul_f32_e32 v2, v53, v9
	v_fma_f32 v57, v52, v8, -v2
	v_mul_f32_e32 v2, v55, v11
	v_mul_f32_e32 v8, v53, v8
	v_fma_f32 v3, v54, v10, -v2
	v_mul_f32_e32 v2, v49, v7
	v_fmac_f32_e32 v8, v52, v9
	v_mul_f32_e32 v9, v55, v10
	v_fma_f32 v10, v48, v6, -v2
	v_mul_f32_e32 v6, v49, v6
	s_waitcnt lgkmcnt(2)
	v_mul_f32_e32 v2, v51, v20
	v_fmac_f32_e32 v9, v54, v11
	v_mul_f32_e32 v11, v51, v19
	v_fmac_f32_e32 v6, v48, v7
	v_fma_f32 v7, v50, v19, -v2
	v_mul_f32_e32 v2, v45, v22
	v_fmac_f32_e32 v11, v50, v20
	v_mul_f32_e32 v20, v45, v21
	v_fma_f32 v19, v44, v21, -v2
	s_waitcnt lgkmcnt(1)
	v_mul_f32_e32 v2, v24, v47
	v_fmac_f32_e32 v20, v44, v22
	v_mul_f32_e32 v22, v23, v47
	v_fma_f32 v21, v23, v46, -v2
	v_mul_f32_e32 v2, v26, v41
	v_fmac_f32_e32 v22, v24, v46
	v_mul_f32_e32 v24, v25, v41
	v_sub_f32_e32 v41, v3, v7
	v_fma_f32 v23, v25, v40, -v2
	s_waitcnt lgkmcnt(0)
	v_mul_f32_e32 v2, v37, v43
	v_fmac_f32_e32 v24, v26, v40
	v_mul_f32_e32 v26, v36, v43
	v_sub_f32_e32 v40, v11, v22
	v_fma_f32 v25, v36, v42, -v2
	global_load_dwordx2 v[1:2], v1, s[4:5] offset:64
	v_fmac_f32_e32 v26, v37, v42
	s_waitcnt vmcnt(0)
	s_barrier
	v_sub_f32_e32 v42, v25, v21
	v_sub_f32_e32 v43, v21, v25
	buffer_gl0_inv
	v_add_f32_e32 v41, v41, v42
	v_mul_f32_e32 v36, v39, v2
	v_mul_f32_e32 v2, v38, v2
	v_fma_f32 v36, v38, v1, -v36
	v_fmac_f32_e32 v2, v39, v1
	v_add_f32_e32 v1, v4, v3
	v_add_f32_e32 v1, v1, v7
	v_add_f32_e32 v1, v1, v21
	v_add_f32_e32 v37, v1, v25
	v_add_f32_e32 v1, v7, v21
	v_fma_f32 v38, -0.5, v1, v4
	v_sub_f32_e32 v1, v9, v26
	v_fmamk_f32 v39, v1, 0x3f737871, v38
	v_fmac_f32_e32 v38, 0xbf737871, v1
	v_fmac_f32_e32 v39, 0x3f167918, v40
	v_fmac_f32_e32 v38, 0xbf167918, v40
	v_fmac_f32_e32 v39, 0x3e9e377a, v41
	v_fmac_f32_e32 v38, 0x3e9e377a, v41
	v_add_f32_e32 v41, v3, v25
	v_fma_f32 v41, -0.5, v41, v4
	v_sub_f32_e32 v4, v7, v3
	v_fmamk_f32 v42, v40, 0xbf737871, v41
	v_fmac_f32_e32 v41, 0x3f737871, v40
	v_add_f32_e32 v4, v4, v43
	v_fmac_f32_e32 v42, 0x3f167918, v1
	v_fmac_f32_e32 v41, 0xbf167918, v1
	v_add_f32_e32 v1, v5, v9
	v_fmac_f32_e32 v42, 0x3e9e377a, v4
	v_fmac_f32_e32 v41, 0x3e9e377a, v4
	v_add_f32_e32 v1, v1, v11
	v_sub_f32_e32 v4, v9, v11
	v_add_f32_e32 v1, v1, v22
	v_add_f32_e32 v40, v1, v26
	;; [unrolled: 1-line block ×3, first 2 shown]
	v_fma_f32 v43, -0.5, v1, v5
	v_sub_f32_e32 v1, v3, v25
	v_sub_f32_e32 v3, v7, v21
	;; [unrolled: 1-line block ×3, first 2 shown]
	v_fmamk_f32 v44, v1, 0xbf737871, v43
	v_fmac_f32_e32 v43, 0x3f737871, v1
	v_add_f32_e32 v4, v4, v7
	v_sub_f32_e32 v7, v36, v23
	v_fmac_f32_e32 v44, 0xbf167918, v3
	v_fmac_f32_e32 v43, 0x3f167918, v3
	;; [unrolled: 1-line block ×4, first 2 shown]
	v_add_f32_e32 v4, v9, v26
	v_fma_f32 v45, -0.5, v4, v5
	v_sub_f32_e32 v4, v11, v9
	v_sub_f32_e32 v5, v22, v26
	v_fmamk_f32 v46, v3, 0x3f737871, v45
	v_fmac_f32_e32 v45, 0xbf737871, v3
	v_add_f32_e32 v4, v4, v5
	v_sub_f32_e32 v3, v20, v24
	v_sub_f32_e32 v5, v10, v19
	v_fmac_f32_e32 v46, 0xbf167918, v1
	v_fmac_f32_e32 v45, 0x3f167918, v1
	v_add_f32_e32 v1, v57, v10
	v_add_f32_e32 v5, v5, v7
	v_fmac_f32_e32 v46, 0x3e9e377a, v4
	v_fmac_f32_e32 v45, 0x3e9e377a, v4
	v_add_f32_e32 v1, v1, v19
	v_sub_f32_e32 v7, v23, v36
	v_add_f32_e32 v1, v1, v23
	v_add_f32_e32 v11, v1, v36
	;; [unrolled: 1-line block ×3, first 2 shown]
	v_fma_f32 v21, -0.5, v1, v57
	v_sub_f32_e32 v1, v6, v2
	v_fmamk_f32 v4, v1, 0x3f737871, v21
	v_fmac_f32_e32 v21, 0xbf737871, v1
	v_fmac_f32_e32 v4, 0x3f167918, v3
	;; [unrolled: 1-line block ×5, first 2 shown]
	v_add_f32_e32 v5, v10, v36
	v_mul_f32_e32 v49, 0xbf167918, v4
	v_fmac_f32_e32 v57, -0.5, v5
	v_sub_f32_e32 v5, v19, v10
	v_fmamk_f32 v22, v3, 0xbf737871, v57
	v_fmac_f32_e32 v57, 0x3f737871, v3
	v_add_f32_e32 v5, v5, v7
	v_sub_f32_e32 v3, v19, v23
	v_sub_f32_e32 v7, v2, v24
	v_fmac_f32_e32 v22, 0x3f167918, v1
	v_fmac_f32_e32 v57, 0xbf167918, v1
	v_add_f32_e32 v1, v8, v6
	v_sub_f32_e32 v23, v37, v11
	v_fmac_f32_e32 v22, 0x3e9e377a, v5
	v_fmac_f32_e32 v57, 0x3e9e377a, v5
	v_add_f32_e32 v1, v1, v20
	v_sub_f32_e32 v5, v6, v20
	v_add_f32_e32 v1, v1, v24
	v_add_f32_e32 v5, v5, v7
	v_add_f32_e32 v26, v1, v2
	v_add_f32_e32 v1, v20, v24
	v_fma_f32 v25, -0.5, v1, v8
	v_sub_f32_e32 v1, v10, v36
	v_fmamk_f32 v10, v1, 0xbf737871, v25
	v_fmac_f32_e32 v25, 0x3f737871, v1
	v_fmac_f32_e32 v10, 0xbf167918, v3
	;; [unrolled: 1-line block ×5, first 2 shown]
	v_add_f32_e32 v5, v6, v2
	v_sub_f32_e32 v2, v24, v2
	v_fmac_f32_e32 v49, 0x3f4f1bbd, v10
	v_fmac_f32_e32 v8, -0.5, v5
	v_sub_f32_e32 v5, v20, v6
	v_mul_f32_e32 v20, 0x3f167918, v10
	v_mul_f32_e32 v10, 0x3f4f1bbd, v25
	v_fmamk_f32 v19, v3, 0x3f737871, v8
	v_fmac_f32_e32 v8, 0xbf737871, v3
	v_add_f32_e32 v2, v5, v2
	v_fmac_f32_e32 v20, 0x3f4f1bbd, v4
	v_fma_f32 v51, 0xbf167918, v21, -v10
	v_fmac_f32_e32 v19, 0xbf167918, v1
	v_fmac_f32_e32 v8, 0x3f167918, v1
	v_add_f32_e32 v1, v37, v11
	v_lshrrev_b32_e32 v11, 2, v34
	v_add_f32_e32 v3, v39, v20
	v_fmac_f32_e32 v19, 0x3e9e377a, v2
	v_fmac_f32_e32 v8, 0x3e9e377a, v2
	v_mul_f32_e32 v2, 0x3e9e377a, v57
	v_mul_u32_u24_e32 v11, 40, v11
	v_add_f32_e32 v4, v44, v49
	v_mul_f32_e32 v24, 0x3f737871, v19
	v_add_f32_e32 v10, v43, v51
	v_fma_f32 v47, 0x3f737871, v8, -v2
	v_or_b32_e32 v11, v11, v56
	v_mul_f32_e32 v8, 0x3e9e377a, v8
	v_fmac_f32_e32 v24, 0x3e9e377a, v22
	v_mul_f32_e32 v22, 0xbf737871, v22
	v_mul_f32_e32 v2, 0x3f4f1bbd, v21
	v_mul_u32_u24_e32 v11, 0x60, v11
	v_fma_f32 v50, 0xbf737871, v57, -v8
	v_add_f32_e32 v5, v42, v24
	v_fmac_f32_e32 v22, 0x3e9e377a, v19
	v_fma_f32 v48, 0x3f167918, v25, -v2
	v_add_f32_e32 v2, v40, v26
	v_add3_u32 v0, 0, v11, v0
	v_add_f32_e32 v7, v41, v47
	v_add_f32_e32 v6, v46, v22
	;; [unrolled: 1-line block ×4, first 2 shown]
	v_sub_f32_e32 v36, v42, v24
	v_sub_f32_e32 v24, v40, v26
	;; [unrolled: 1-line block ×5, first 2 shown]
	ds_write2_b64 v0, v[1:2], v[3:4] offset1:48
	ds_write2_b64 v0, v[5:6], v[7:8] offset0:96 offset1:144
	ds_write2_b64 v0, v[9:10], v[23:24] offset0:192 offset1:240
	v_add_nc_u32_e32 v0, 0x800, v0
	v_sub_f32_e32 v19, v41, v47
	v_sub_f32_e32 v21, v38, v48
	;; [unrolled: 1-line block ×4, first 2 shown]
	ds_write2_b64 v0, v[25:26], v[36:37] offset0:32 offset1:80
	ds_write2_b64 v0, v[19:20], v[21:22] offset0:128 offset1:176
	v_add_nc_u32_e32 v0, 0x100, v13
	s_waitcnt lgkmcnt(0)
	s_barrier
	buffer_gl0_inv
	ds_read_b64 v[23:24], v13
	ds_read2st64_b64 v[8:11], v0 offset0:7 offset1:10
	ds_read2st64_b64 v[4:7], v13 offset0:15 offset1:18
	;; [unrolled: 1-line block ×3, first 2 shown]
	ds_read_b64 v[25:26], v35
	s_and_saveexec_b32 s2, s1
	s_cbranch_execz .LBB0_19
; %bb.18:
	v_add_nc_u32_e32 v15, 0x600, v35
	ds_read_b64 v[21:22], v13 offset:6912
	ds_read_b64 v[17:18], v13 offset:10752
	ds_read_b64 v[19:20], v15
	ds_read_b64 v[15:16], v13 offset:14592
.LBB0_19:
	s_or_b32 exec_lo, exec_lo, s2
	v_mul_u32_u24_e32 v13, 3, v34
	v_lshlrev_b32_e32 v13, 3, v13
	s_clause 0x1
	global_load_dwordx2 v[39:40], v13, s[4:5] offset:304
	global_load_dwordx4 v[35:38], v13, s[4:5] offset:288
	s_waitcnt vmcnt(0) lgkmcnt(3)
	v_mul_f32_e32 v13, v36, v9
	v_mul_f32_e32 v42, v36, v8
	s_waitcnt lgkmcnt(2)
	v_mul_f32_e32 v44, v38, v4
	v_fma_f32 v41, v35, v8, -v13
	v_mul_f32_e32 v8, v38, v5
	v_fmac_f32_e32 v42, v35, v9
	v_mul_hi_u32 v35, 0x6666667, v27
	v_fmac_f32_e32 v44, v37, v5
	v_mul_hi_u32 v13, 0x6666667, v28
	v_fma_f32 v43, v37, v4, -v8
	s_waitcnt lgkmcnt(1)
	v_mul_f32_e32 v4, v40, v1
	v_mul_f32_e32 v40, v40, v0
	v_fma_f32 v45, v39, v0, -v4
	v_mul_u32_u24_e32 v0, 40, v35
	v_fmac_f32_e32 v40, v39, v1
	v_mov_b32_e32 v1, 0
	v_sub_nc_u32_e32 v46, v27, v0
	v_mul_i32_i24_e32 v0, 3, v46
	v_lshlrev_b64 v[4:5], 3, v[0:1]
	v_add_co_u32 v4, s1, s4, v4
	v_add_co_ci_u32_e64 v5, s1, s5, v5, s1
	s_clause 0x1
	global_load_dwordx2 v[8:9], v[4:5], off offset:304
	global_load_dwordx4 v[36:39], v[4:5], off offset:288
	s_waitcnt vmcnt(0)
	v_mul_f32_e32 v0, v37, v11
	v_fma_f32 v47, v36, v10, -v0
	v_mul_f32_e32 v10, v37, v10
	v_mul_f32_e32 v0, v39, v7
	v_fmac_f32_e32 v10, v36, v11
	v_fma_f32 v11, v38, v6, -v0
	v_mul_f32_e32 v6, v39, v6
	v_mul_f32_e32 v0, v9, v3
	;; [unrolled: 1-line block ×3, first 2 shown]
	v_fmac_f32_e32 v6, v38, v7
	v_fma_f32 v7, v8, v2, -v0
	v_mul_u32_u24_e32 v0, 40, v13
	v_fmac_f32_e32 v9, v8, v3
	s_waitcnt lgkmcnt(0)
	v_sub_f32_e32 v6, v26, v6
	v_sub_f32_e32 v7, v47, v7
	v_sub_nc_u32_e32 v36, v28, v0
	v_sub_f32_e32 v9, v10, v9
	v_add_f32_e32 v48, v6, v7
	v_mul_i32_i24_e32 v0, 3, v36
	v_fma_f32 v10, v10, 2.0, -v9
	v_fma_f32 v50, v6, 2.0, -v48
	v_lshlrev_b64 v[0:1], 3, v[0:1]
	v_add_co_u32 v0, s1, s4, v0
	v_add_co_ci_u32_e64 v1, s1, s5, v1, s1
	s_clause 0x1
	global_load_dwordx2 v[4:5], v[0:1], off offset:304
	global_load_dwordx4 v[0:3], v[0:1], off offset:288
	s_add_i32 s1, 0, 0x3c00
	s_waitcnt vmcnt(0)
	v_mul_f32_e32 v8, v22, v1
	v_mul_f32_e32 v1, v21, v1
	v_fma_f32 v8, v21, v0, -v8
	v_fmac_f32_e32 v1, v22, v0
	v_mul_f32_e32 v0, v18, v3
	v_mul_f32_e32 v3, v17, v3
	v_sub_f32_e32 v21, v42, v40
	v_fma_f32 v0, v17, v2, -v0
	v_fmac_f32_e32 v3, v18, v2
	v_mul_f32_e32 v2, v16, v5
	v_mul_f32_e32 v5, v15, v5
	v_sub_f32_e32 v18, v41, v45
	v_sub_f32_e32 v0, v19, v0
	;; [unrolled: 1-line block ×3, first 2 shown]
	v_fma_f32 v2, v15, v4, -v2
	v_fmac_f32_e32 v5, v16, v4
	v_sub_f32_e32 v4, v23, v43
	v_fma_f32 v22, v41, 2.0, -v18
	v_sub_f32_e32 v15, v24, v44
	v_sub_f32_e32 v2, v8, v2
	;; [unrolled: 1-line block ×4, first 2 shown]
	v_fma_f32 v16, v23, 2.0, -v4
	v_fma_f32 v23, v42, 2.0, -v21
	;; [unrolled: 1-line block ×5, first 2 shown]
	v_sub_f32_e32 v4, v25, v11
	v_sub_f32_e32 v38, v16, v22
	v_fma_f32 v22, v47, 2.0, -v7
	v_sub_f32_e32 v43, v21, v10
	v_fma_f32 v7, v8, 2.0, -v2
	;; [unrolled: 2-line block ×3, first 2 shown]
	v_fma_f32 v6, v20, 2.0, -v3
	v_fma_f32 v45, v21, 2.0, -v43
	v_add_f32_e32 v20, v3, v2
	v_fma_f32 v49, v4, 2.0, -v47
	v_fma_f32 v4, v19, 2.0, -v0
	v_sub_f32_e32 v19, v0, v5
	v_sub_f32_e32 v39, v17, v23
	v_fma_f32 v1, v1, 2.0, -v5
	v_sub_f32_e32 v42, v11, v22
	v_sub_f32_e32 v21, v4, v7
	v_fma_f32 v23, v0, 2.0, -v19
	v_fma_f32 v24, v3, 2.0, -v20
	v_sub_f32_e32 v22, v6, v1
	v_mul_lo_u32 v25, v14, 40
	v_fma_f32 v26, v4, 2.0, -v21
	v_mul_lo_u32 v4, v34, v14
	v_fma_f32 v16, v16, 2.0, -v38
	v_fma_f32 v17, v17, 2.0, -v39
	;; [unrolled: 1-line block ×3, first 2 shown]
	v_add_f32_e32 v18, v15, v18
	v_fma_f32 v44, v11, 2.0, -v42
	v_lshrrev_b32_e32 v2, 2, v4
	v_and_b32_e32 v0, 31, v4
	v_add_nc_u32_e32 v6, v4, v25
	v_fma_f32 v15, v15, 2.0, -v18
	v_and_b32_e32 v2, 0xf8, v2
	v_lshl_add_u32 v0, v0, 3, 0
	v_add_nc_u32_e32 v8, v6, v25
	v_add_nc_u32_e32 v2, s1, v2
	ds_read_b64 v[0:1], v0 offset:15360
	v_add_nc_u32_e32 v10, v8, v25
	ds_read_b64 v[2:3], v2 offset:256
	s_waitcnt lgkmcnt(0)
	v_mul_f32_e32 v5, v1, v3
	v_mul_f32_e32 v3, v0, v3
	v_fma_f32 v5, v0, v2, -v5
	v_lshrrev_b32_e32 v0, 7, v4
	v_fmac_f32_e32 v3, v1, v2
	v_lshrrev_b32_e32 v4, 2, v6
	v_and_b32_e32 v0, 0xf8, v0
	v_and_b32_e32 v4, 0xf8, v4
	v_add_nc_u32_e32 v0, s1, v0
	v_add_nc_u32_e32 v4, s1, v4
	ds_read_b64 v[0:1], v0 offset:512
	s_waitcnt lgkmcnt(0)
	v_mul_f32_e32 v2, v3, v1
	v_mul_f32_e32 v1, v5, v1
	v_fma_f32 v2, v0, v5, -v2
	v_fmac_f32_e32 v1, v0, v3
	ds_read_b64 v[4:5], v4 offset:256
	v_mul_f32_e32 v0, v17, v1
	v_mul_f32_e32 v1, v16, v1
	v_fma_f32 v0, v16, v2, -v0
	v_fmac_f32_e32 v1, v17, v2
	v_and_b32_e32 v2, 31, v6
	v_lshl_add_u32 v2, v2, 3, 0
	ds_read_b64 v[2:3], v2 offset:15360
	s_waitcnt lgkmcnt(0)
	v_mul_f32_e32 v7, v3, v5
	v_mul_f32_e32 v5, v2, v5
	v_fma_f32 v7, v2, v4, -v7
	v_lshrrev_b32_e32 v2, 7, v6
	v_fmac_f32_e32 v5, v3, v4
	v_lshrrev_b32_e32 v6, 2, v8
	v_and_b32_e32 v2, 0xf8, v2
	v_and_b32_e32 v6, 0xf8, v6
	v_add_nc_u32_e32 v2, s1, v2
	v_add_nc_u32_e32 v6, s1, v6
	ds_read_b64 v[2:3], v2 offset:512
	s_waitcnt lgkmcnt(0)
	v_mul_f32_e32 v4, v5, v3
	v_mul_f32_e32 v3, v7, v3
	v_fma_f32 v4, v2, v7, -v4
	v_fmac_f32_e32 v3, v2, v5
	ds_read_b64 v[6:7], v6 offset:256
	v_mul_f32_e32 v2, v15, v3
	v_mul_f32_e32 v3, v41, v3
	v_fma_f32 v2, v41, v4, -v2
	v_fmac_f32_e32 v3, v15, v4
	v_and_b32_e32 v4, 31, v8
	v_mul_lo_u32 v15, v46, v14
	v_mul_lo_u32 v14, v36, v14
	v_lshl_add_u32 v4, v4, 3, 0
	v_add_nc_u32_e32 v17, v15, v25
	ds_read_b64 v[4:5], v4 offset:15360
	s_waitcnt lgkmcnt(0)
	v_mul_f32_e32 v9, v5, v7
	v_mul_f32_e32 v7, v4, v7
	v_fma_f32 v9, v4, v6, -v9
	v_lshrrev_b32_e32 v4, 7, v8
	v_fmac_f32_e32 v7, v5, v6
	v_lshrrev_b32_e32 v8, 2, v10
	v_and_b32_e32 v4, 0xf8, v4
	v_and_b32_e32 v8, 0xf8, v8
	v_add_nc_u32_e32 v4, s1, v4
	v_add_nc_u32_e32 v8, s1, v8
	ds_read_b64 v[4:5], v4 offset:512
	s_waitcnt lgkmcnt(0)
	v_mul_f32_e32 v6, v7, v5
	v_mul_f32_e32 v5, v9, v5
	v_fma_f32 v6, v4, v9, -v6
	v_fmac_f32_e32 v5, v4, v7
	ds_read_b64 v[8:9], v8 offset:256
	v_mul_f32_e32 v4, v39, v5
	v_mul_f32_e32 v5, v38, v5
	v_fma_f32 v4, v38, v6, -v4
	v_fmac_f32_e32 v5, v39, v6
	v_and_b32_e32 v6, 31, v10
	v_lshl_add_u32 v6, v6, 3, 0
	ds_read_b64 v[6:7], v6 offset:15360
	s_waitcnt lgkmcnt(0)
	v_mul_f32_e32 v11, v7, v9
	v_mul_f32_e32 v9, v6, v9
	v_fma_f32 v11, v6, v8, -v11
	v_lshrrev_b32_e32 v6, 7, v10
	v_fmac_f32_e32 v9, v7, v8
	v_lshrrev_b32_e32 v10, 2, v15
	v_and_b32_e32 v6, 0xf8, v6
	v_and_b32_e32 v10, 0xf8, v10
	v_add_nc_u32_e32 v6, s1, v6
	v_add_nc_u32_e32 v10, s1, v10
	ds_read_b64 v[6:7], v6 offset:512
	s_waitcnt lgkmcnt(0)
	v_mul_f32_e32 v8, v9, v7
	v_mul_f32_e32 v7, v11, v7
	v_fma_f32 v8, v6, v11, -v8
	v_fmac_f32_e32 v7, v6, v9
	ds_read_b64 v[10:11], v10 offset:256
	v_mul_f32_e32 v6, v18, v7
	v_mul_f32_e32 v7, v40, v7
	v_fma_f32 v6, v40, v8, -v6
	v_fmac_f32_e32 v7, v18, v8
	v_and_b32_e32 v8, 31, v15
	v_lshl_add_u32 v8, v8, 3, 0
	;; [unrolled: 25-line block ×3, first 2 shown]
	ds_read_b64 v[10:11], v10 offset:15360
	s_waitcnt lgkmcnt(0)
	v_mul_f32_e32 v18, v11, v16
	v_mul_f32_e32 v16, v10, v16
	v_fma_f32 v18, v10, v15, -v18
	v_lshrrev_b32_e32 v10, 7, v17
	v_fmac_f32_e32 v16, v11, v15
	v_and_b32_e32 v10, 0xf8, v10
	v_add_nc_u32_e32 v10, s1, v10
	ds_read_b64 v[10:11], v10 offset:512
	s_waitcnt lgkmcnt(0)
	v_mul_f32_e32 v15, v16, v11
	v_mul_f32_e32 v11, v18, v11
	v_fma_f32 v34, v10, v18, -v15
	v_fmac_f32_e32 v11, v10, v16
	v_mul_f32_e32 v10, v50, v11
	v_mul_f32_e32 v16, v49, v11
	v_fma_f32 v15, v49, v34, -v10
	v_fmac_f32_e32 v16, v50, v34
	v_add_nc_u32_e32 v34, v17, v25
	v_lshrrev_b32_e32 v17, 2, v34
	v_and_b32_e32 v10, 31, v34
	v_and_b32_e32 v17, 0xf8, v17
	v_lshl_add_u32 v10, v10, 3, 0
	v_add_nc_u32_e32 v17, s1, v17
	ds_read_b64 v[10:11], v10 offset:15360
	ds_read_b64 v[17:18], v17 offset:256
	s_waitcnt lgkmcnt(0)
	v_mul_f32_e32 v38, v11, v18
	v_mul_f32_e32 v18, v10, v18
	v_fma_f32 v38, v10, v17, -v38
	v_lshrrev_b32_e32 v10, 7, v34
	v_fmac_f32_e32 v18, v11, v17
	v_add_nc_u32_e32 v34, v34, v25
	v_and_b32_e32 v10, 0xf8, v10
	v_add_nc_u32_e32 v10, s1, v10
	ds_read_b64 v[10:11], v10 offset:512
	s_waitcnt lgkmcnt(0)
	v_mul_f32_e32 v17, v18, v11
	v_mul_f32_e32 v11, v38, v11
	v_fma_f32 v17, v10, v38, -v17
	v_fmac_f32_e32 v11, v10, v18
	v_lshrrev_b32_e32 v38, 2, v34
	v_mul_f32_e32 v10, v43, v11
	v_mul_f32_e32 v11, v42, v11
	v_and_b32_e32 v38, 0xf8, v38
	v_fma_f32 v10, v42, v17, -v10
	v_fmac_f32_e32 v11, v43, v17
	v_and_b32_e32 v17, 31, v34
	v_add_nc_u32_e32 v38, s1, v38
	v_lshl_add_u32 v17, v17, 3, 0
	ds_read_b64 v[38:39], v38 offset:256
	ds_read_b64 v[17:18], v17 offset:15360
	s_waitcnt lgkmcnt(0)
	v_mul_f32_e32 v40, v18, v39
	v_mul_f32_e32 v39, v17, v39
	v_fma_f32 v40, v17, v38, -v40
	v_lshrrev_b32_e32 v17, 7, v34
	v_fmac_f32_e32 v39, v18, v38
	v_and_b32_e32 v17, 0xf8, v17
	v_add_nc_u32_e32 v17, s1, v17
	ds_read_b64 v[17:18], v17 offset:512
	s_waitcnt lgkmcnt(0)
	v_mul_f32_e32 v34, v39, v18
	v_mul_f32_e32 v18, v40, v18
	v_fma_f32 v34, v17, v40, -v34
	v_fmac_f32_e32 v18, v17, v39
	v_mul_f32_e32 v17, v48, v18
	v_mul_f32_e32 v18, v47, v18
	v_fma_f32 v17, v47, v34, -v17
	v_fmac_f32_e32 v18, v48, v34
	v_and_b32_e32 v34, 31, v14
	v_lshl_add_u32 v34, v34, 3, 0
	ds_read_b64 v[38:39], v34 offset:15360
	v_lshrrev_b32_e32 v34, 2, v14
	v_and_b32_e32 v34, 0xf8, v34
	v_add_nc_u32_e32 v34, s1, v34
	ds_read_b64 v[40:41], v34 offset:256
	s_waitcnt lgkmcnt(0)
	v_mul_f32_e32 v34, v39, v41
	v_mul_f32_e32 v36, v38, v41
	v_fma_f32 v34, v38, v40, -v34
	v_lshrrev_b32_e32 v38, 7, v14
	v_fmac_f32_e32 v36, v39, v40
	v_add_nc_u32_e32 v14, v14, v25
	v_and_b32_e32 v38, 0xf8, v38
	v_add_nc_u32_e32 v38, s1, v38
	ds_read_b64 v[38:39], v38 offset:512
	s_waitcnt lgkmcnt(0)
	v_mul_f32_e32 v40, v36, v39
	v_fma_f32 v40, v38, v34, -v40
	v_mul_f32_e32 v34, v34, v39
	v_fmac_f32_e32 v34, v38, v36
	v_mul_f32_e32 v36, v37, v34
	v_mul_f32_e32 v39, v26, v34
	v_fma_f32 v38, v26, v40, -v36
	v_and_b32_e32 v26, 31, v14
	v_fmac_f32_e32 v39, v37, v40
	v_lshl_add_u32 v26, v26, 3, 0
	ds_read_b64 v[36:37], v26 offset:15360
	v_lshrrev_b32_e32 v26, 2, v14
	v_and_b32_e32 v26, 0xf8, v26
	v_add_nc_u32_e32 v26, s1, v26
	ds_read_b64 v[40:41], v26 offset:256
	s_waitcnt lgkmcnt(0)
	v_mul_f32_e32 v26, v37, v41
	v_mul_f32_e32 v34, v36, v41
	v_fma_f32 v26, v36, v40, -v26
	v_lshrrev_b32_e32 v36, 7, v14
	v_fmac_f32_e32 v34, v37, v40
	v_add_nc_u32_e32 v14, v14, v25
	v_and_b32_e32 v36, 0xf8, v36
	v_add_nc_u32_e32 v36, s1, v36
	ds_read_b64 v[36:37], v36 offset:512
	s_waitcnt lgkmcnt(0)
	v_mul_f32_e32 v40, v34, v37
	v_fma_f32 v40, v36, v26, -v40
	v_mul_f32_e32 v26, v26, v37
	v_fmac_f32_e32 v26, v36, v34
	v_mul_f32_e32 v34, v24, v26
	v_mul_f32_e32 v37, v23, v26
	v_lshrrev_b32_e32 v26, 2, v14
	v_fma_f32 v36, v23, v40, -v34
	v_and_b32_e32 v23, 31, v14
	v_and_b32_e32 v26, 0xf8, v26
	v_fmac_f32_e32 v37, v24, v40
	v_lshl_add_u32 v23, v23, 3, 0
	v_add_nc_u32_e32 v26, s1, v26
	ds_read_b64 v[23:24], v23 offset:15360
	ds_read_b64 v[40:41], v26 offset:256
	s_waitcnt lgkmcnt(0)
	v_mul_f32_e32 v26, v24, v41
	v_mul_f32_e32 v34, v23, v41
	v_fma_f32 v26, v23, v40, -v26
	v_lshrrev_b32_e32 v23, 7, v14
	v_fmac_f32_e32 v34, v24, v40
	v_add_nc_u32_e32 v14, v14, v25
	v_and_b32_e32 v23, 0xf8, v23
	v_lshrrev_b32_e32 v25, 2, v14
	v_add_nc_u32_e32 v23, s1, v23
	v_and_b32_e32 v25, 0xf8, v25
	ds_read_b64 v[23:24], v23 offset:512
	v_add_nc_u32_e32 v25, s1, v25
	s_waitcnt lgkmcnt(0)
	v_mul_f32_e32 v40, v34, v24
	v_mul_f32_e32 v24, v26, v24
	v_fma_f32 v40, v23, v26, -v40
	v_fmac_f32_e32 v24, v23, v34
	ds_read_b64 v[25:26], v25 offset:256
	v_mul_f32_e32 v23, v22, v24
	v_mul_f32_e32 v24, v21, v24
	v_fma_f32 v23, v21, v40, -v23
	v_and_b32_e32 v21, 31, v14
	v_fmac_f32_e32 v24, v22, v40
	v_lshrrev_b32_e32 v14, 7, v14
	v_lshl_add_u32 v21, v21, 3, 0
	v_and_b32_e32 v14, 0xf8, v14
	ds_read_b64 v[21:22], v21 offset:15360
	v_add_nc_u32_e32 v14, s1, v14
	v_readfirstlane_b32 s1, v33
	s_waitcnt lgkmcnt(0)
	v_mul_f32_e32 v34, v22, v26
	v_mul_f32_e32 v26, v21, v26
	v_fma_f32 v34, v21, v25, -v34
	v_fmac_f32_e32 v26, v22, v25
	ds_read_b64 v[21:22], v14 offset:512
	s_waitcnt lgkmcnt(0)
	v_mul_f32_e32 v14, v26, v22
	v_mul_f32_e32 v22, v34, v22
	v_fma_f32 v14, v21, v34, -v14
	v_fmac_f32_e32 v22, v21, v26
	v_mul_f32_e32 v21, v20, v22
	v_mul_f32_e32 v22, v19, v22
	v_fma_f32 v21, v19, v14, -v21
	v_fmac_f32_e32 v22, v20, v14
	v_add_lshl_u32 v14, v12, v29, 3
	v_cndmask_b32_e64 v14, -1, v14, s0
	buffer_store_dwordx2 v[0:1], v14, s[8:11], s1 offen
	v_add_lshl_u32 v0, v12, v31, 3
	v_cndmask_b32_e64 v0, -1, v0, s0
	buffer_store_dwordx2 v[2:3], v0, s[8:11], s1 offen
	;; [unrolled: 3-line block ×4, first 2 shown]
	v_mad_u32_u24 v0, 0x78, v35, v27
	v_mul_lo_u32 v1, s16, v0
	v_add_lshl_u32 v1, v12, v1, 3
	v_cndmask_b32_e64 v1, -1, v1, s0
	buffer_store_dwordx2 v[8:9], v1, s[8:11], s1 offen
	v_add_nc_u32_e32 v1, 40, v0
	v_mul_lo_u32 v1, s16, v1
	v_add_lshl_u32 v1, v12, v1, 3
	v_cndmask_b32_e64 v1, -1, v1, s0
	buffer_store_dwordx2 v[15:16], v1, s[8:11], s1 offen
	v_add_nc_u32_e32 v1, 0x50, v0
	v_add_nc_u32_e32 v0, 0x78, v0
	v_mul_lo_u32 v1, s16, v1
	v_mul_lo_u32 v0, s16, v0
	v_add_lshl_u32 v1, v12, v1, 3
	v_add_lshl_u32 v0, v12, v0, 3
	v_cndmask_b32_e64 v1, -1, v1, s0
	v_cndmask_b32_e64 v0, -1, v0, s0
	buffer_store_dwordx2 v[10:11], v1, s[8:11], s1 offen
	buffer_store_dwordx2 v[17:18], v0, s[8:11], s1 offen
	v_mad_u32_u24 v0, 0x78, v13, v28
	v_mul_lo_u32 v1, s16, v0
	v_add_lshl_u32 v1, v12, v1, 3
	v_cndmask_b32_e32 v1, -1, v1, vcc_lo
	buffer_store_dwordx2 v[38:39], v1, s[8:11], s1 offen
	v_add_nc_u32_e32 v1, 40, v0
	v_mul_lo_u32 v1, s16, v1
	v_add_lshl_u32 v1, v12, v1, 3
	v_cndmask_b32_e32 v1, -1, v1, vcc_lo
	buffer_store_dwordx2 v[36:37], v1, s[8:11], s1 offen
	v_add_nc_u32_e32 v1, 0x50, v0
	v_add_nc_u32_e32 v0, 0x78, v0
	v_mul_lo_u32 v1, s16, v1
	v_mul_lo_u32 v0, s16, v0
	v_add_lshl_u32 v1, v12, v1, 3
	v_add_lshl_u32 v0, v12, v0, 3
	v_cndmask_b32_e32 v1, -1, v1, vcc_lo
	v_cndmask_b32_e32 v0, -1, v0, vcc_lo
	buffer_store_dwordx2 v[23:24], v1, s[8:11], s1 offen
	buffer_store_dwordx2 v[21:22], v0, s[8:11], s1 offen
	s_endpgm
	.section	.rodata,"a",@progbits
	.p2align	6, 0x0
	.amdhsa_kernel fft_rtc_fwd_len160_factors_4_10_4_wgs_192_tpt_16_sp_ip_CI_sbcc_twdbase5_3step_dirReg_intrinsicReadWrite
		.amdhsa_group_segment_fixed_size 0
		.amdhsa_private_segment_fixed_size 0
		.amdhsa_kernarg_size 96
		.amdhsa_user_sgpr_count 6
		.amdhsa_user_sgpr_private_segment_buffer 1
		.amdhsa_user_sgpr_dispatch_ptr 0
		.amdhsa_user_sgpr_queue_ptr 0
		.amdhsa_user_sgpr_kernarg_segment_ptr 1
		.amdhsa_user_sgpr_dispatch_id 0
		.amdhsa_user_sgpr_flat_scratch_init 0
		.amdhsa_user_sgpr_private_segment_size 0
		.amdhsa_wavefront_size32 1
		.amdhsa_uses_dynamic_stack 0
		.amdhsa_system_sgpr_private_segment_wavefront_offset 0
		.amdhsa_system_sgpr_workgroup_id_x 1
		.amdhsa_system_sgpr_workgroup_id_y 0
		.amdhsa_system_sgpr_workgroup_id_z 0
		.amdhsa_system_sgpr_workgroup_info 0
		.amdhsa_system_vgpr_workitem_id 0
		.amdhsa_next_free_vgpr 58
		.amdhsa_next_free_sgpr 44
		.amdhsa_reserve_vcc 1
		.amdhsa_reserve_flat_scratch 0
		.amdhsa_float_round_mode_32 0
		.amdhsa_float_round_mode_16_64 0
		.amdhsa_float_denorm_mode_32 3
		.amdhsa_float_denorm_mode_16_64 3
		.amdhsa_dx10_clamp 1
		.amdhsa_ieee_mode 1
		.amdhsa_fp16_overflow 0
		.amdhsa_workgroup_processor_mode 1
		.amdhsa_memory_ordered 1
		.amdhsa_forward_progress 0
		.amdhsa_shared_vgpr_count 0
		.amdhsa_exception_fp_ieee_invalid_op 0
		.amdhsa_exception_fp_denorm_src 0
		.amdhsa_exception_fp_ieee_div_zero 0
		.amdhsa_exception_fp_ieee_overflow 0
		.amdhsa_exception_fp_ieee_underflow 0
		.amdhsa_exception_fp_ieee_inexact 0
		.amdhsa_exception_int_div_zero 0
	.end_amdhsa_kernel
	.text
.Lfunc_end0:
	.size	fft_rtc_fwd_len160_factors_4_10_4_wgs_192_tpt_16_sp_ip_CI_sbcc_twdbase5_3step_dirReg_intrinsicReadWrite, .Lfunc_end0-fft_rtc_fwd_len160_factors_4_10_4_wgs_192_tpt_16_sp_ip_CI_sbcc_twdbase5_3step_dirReg_intrinsicReadWrite
                                        ; -- End function
	.section	.AMDGPU.csdata,"",@progbits
; Kernel info:
; codeLenInByte = 6820
; NumSgprs: 46
; NumVgprs: 58
; ScratchSize: 0
; MemoryBound: 0
; FloatMode: 240
; IeeeMode: 1
; LDSByteSize: 0 bytes/workgroup (compile time only)
; SGPRBlocks: 5
; VGPRBlocks: 7
; NumSGPRsForWavesPerEU: 46
; NumVGPRsForWavesPerEU: 58
; Occupancy: 15
; WaveLimiterHint : 0
; COMPUTE_PGM_RSRC2:SCRATCH_EN: 0
; COMPUTE_PGM_RSRC2:USER_SGPR: 6
; COMPUTE_PGM_RSRC2:TRAP_HANDLER: 0
; COMPUTE_PGM_RSRC2:TGID_X_EN: 1
; COMPUTE_PGM_RSRC2:TGID_Y_EN: 0
; COMPUTE_PGM_RSRC2:TGID_Z_EN: 0
; COMPUTE_PGM_RSRC2:TIDIG_COMP_CNT: 0
	.text
	.p2alignl 6, 3214868480
	.fill 48, 4, 3214868480
	.type	__hip_cuid_ba703cd48fa32249,@object ; @__hip_cuid_ba703cd48fa32249
	.section	.bss,"aw",@nobits
	.globl	__hip_cuid_ba703cd48fa32249
__hip_cuid_ba703cd48fa32249:
	.byte	0                               ; 0x0
	.size	__hip_cuid_ba703cd48fa32249, 1

	.ident	"AMD clang version 19.0.0git (https://github.com/RadeonOpenCompute/llvm-project roc-6.4.0 25133 c7fe45cf4b819c5991fe208aaa96edf142730f1d)"
	.section	".note.GNU-stack","",@progbits
	.addrsig
	.addrsig_sym __hip_cuid_ba703cd48fa32249
	.amdgpu_metadata
---
amdhsa.kernels:
  - .args:
      - .actual_access:  read_only
        .address_space:  global
        .offset:         0
        .size:           8
        .value_kind:     global_buffer
      - .address_space:  global
        .offset:         8
        .size:           8
        .value_kind:     global_buffer
      - .offset:         16
        .size:           8
        .value_kind:     by_value
      - .actual_access:  read_only
        .address_space:  global
        .offset:         24
        .size:           8
        .value_kind:     global_buffer
      - .actual_access:  read_only
        .address_space:  global
        .offset:         32
        .size:           8
        .value_kind:     global_buffer
      - .offset:         40
        .size:           8
        .value_kind:     by_value
      - .actual_access:  read_only
        .address_space:  global
        .offset:         48
        .size:           8
        .value_kind:     global_buffer
      - .actual_access:  read_only
        .address_space:  global
        .offset:         56
        .size:           8
        .value_kind:     global_buffer
      - .offset:         64
        .size:           4
        .value_kind:     by_value
      - .actual_access:  read_only
        .address_space:  global
        .offset:         72
        .size:           8
        .value_kind:     global_buffer
      - .actual_access:  read_only
        .address_space:  global
        .offset:         80
        .size:           8
        .value_kind:     global_buffer
      - .address_space:  global
        .offset:         88
        .size:           8
        .value_kind:     global_buffer
    .group_segment_fixed_size: 0
    .kernarg_segment_align: 8
    .kernarg_segment_size: 96
    .language:       OpenCL C
    .language_version:
      - 2
      - 0
    .max_flat_workgroup_size: 192
    .name:           fft_rtc_fwd_len160_factors_4_10_4_wgs_192_tpt_16_sp_ip_CI_sbcc_twdbase5_3step_dirReg_intrinsicReadWrite
    .private_segment_fixed_size: 0
    .sgpr_count:     46
    .sgpr_spill_count: 0
    .symbol:         fft_rtc_fwd_len160_factors_4_10_4_wgs_192_tpt_16_sp_ip_CI_sbcc_twdbase5_3step_dirReg_intrinsicReadWrite.kd
    .uniform_work_group_size: 1
    .uses_dynamic_stack: false
    .vgpr_count:     58
    .vgpr_spill_count: 0
    .wavefront_size: 32
    .workgroup_processor_mode: 1
amdhsa.target:   amdgcn-amd-amdhsa--gfx1030
amdhsa.version:
  - 1
  - 2
...

	.end_amdgpu_metadata
